;; amdgpu-corpus repo=ROCm/rocFFT kind=compiled arch=gfx906 opt=O3
	.text
	.amdgcn_target "amdgcn-amd-amdhsa--gfx906"
	.amdhsa_code_object_version 6
	.protected	bluestein_single_back_len189_dim1_dp_op_CI_CI ; -- Begin function bluestein_single_back_len189_dim1_dp_op_CI_CI
	.globl	bluestein_single_back_len189_dim1_dp_op_CI_CI
	.p2align	8
	.type	bluestein_single_back_len189_dim1_dp_op_CI_CI,@function
bluestein_single_back_len189_dim1_dp_op_CI_CI: ; @bluestein_single_back_len189_dim1_dp_op_CI_CI
; %bb.0:
	v_mul_u32_u24_e32 v1, 0xc31, v0
	s_load_dwordx4 s[8:11], s[4:5], 0x28
	v_lshrrev_b32_e32 v1, 16, v1
	v_mad_u64_u32 v[150:151], s[0:1], s6, 3, v[1:2]
	v_mov_b32_e32 v151, 0
	s_waitcnt lgkmcnt(0)
	v_cmp_gt_u64_e32 vcc, s[8:9], v[150:151]
	s_and_saveexec_b64 s[0:1], vcc
	s_cbranch_execz .LBB0_15
; %bb.1:
	s_load_dwordx4 s[0:3], s[4:5], 0x18
	v_mul_lo_u16_e32 v1, 21, v1
	v_sub_u16_e32 v153, v0, v1
	v_lshlrev_b32_e32 v120, 4, v153
	v_or_b32_e32 v152, 48, v153
	s_waitcnt lgkmcnt(0)
	s_load_dwordx4 s[12:15], s[0:1], 0x0
	s_load_dwordx2 s[6:7], s[4:5], 0x38
	s_waitcnt lgkmcnt(0)
	v_mad_u64_u32 v[0:1], s[0:1], s14, v150, 0
	v_mad_u64_u32 v[2:3], s[0:1], s12, v153, 0
	;; [unrolled: 1-line block ×3, first 2 shown]
	s_load_dwordx2 s[14:15], s[4:5], 0x0
	v_mad_u64_u32 v[5:6], s[0:1], s13, v153, v[3:4]
	v_mov_b32_e32 v1, v4
	v_lshlrev_b64 v[0:1], 4, v[0:1]
	v_mov_b32_e32 v6, s11
	v_mov_b32_e32 v3, v5
	v_add_co_u32_e32 v30, vcc, s10, v0
	v_addc_co_u32_e32 v31, vcc, v6, v1, vcc
	v_lshlrev_b64 v[0:1], 4, v[2:3]
	s_mul_i32 s0, s13, 27
	s_mul_hi_u32 s1, s12, 27
	v_add_co_u32_e32 v0, vcc, v30, v0
	s_add_i32 s1, s1, s0
	s_mul_i32 s0, s12, 27
	v_addc_co_u32_e32 v1, vcc, v31, v1, vcc
	s_lshl_b64 s[16:17], s[0:1], 4
	v_mov_b32_e32 v14, s17
	v_add_co_u32_e32 v2, vcc, s16, v0
	v_addc_co_u32_e32 v3, vcc, v1, v14, vcc
	global_load_dwordx4 v[32:35], v[0:1], off
	global_load_dwordx4 v[36:39], v[2:3], off
	s_waitcnt lgkmcnt(0)
	global_load_dwordx4 v[24:27], v120, s[14:15]
	global_load_dwordx4 v[16:19], v120, s[14:15] offset:432
	v_add_co_u32_e32 v0, vcc, s16, v2
	v_addc_co_u32_e32 v1, vcc, v3, v14, vcc
	v_add_co_u32_e32 v2, vcc, s16, v0
	v_addc_co_u32_e32 v3, vcc, v1, v14, vcc
	global_load_dwordx4 v[40:43], v[0:1], off
	global_load_dwordx4 v[44:47], v[2:3], off
	global_load_dwordx4 v[20:23], v120, s[14:15] offset:864
	global_load_dwordx4 v[4:7], v120, s[14:15] offset:1296
	v_add_co_u32_e32 v0, vcc, s16, v2
	v_addc_co_u32_e32 v1, vcc, v3, v14, vcc
	v_add_co_u32_e32 v12, vcc, s16, v0
	global_load_dwordx4 v[48:51], v[0:1], off
	v_addc_co_u32_e32 v13, vcc, v1, v14, vcc
	global_load_dwordx4 v[52:55], v[12:13], off
	global_load_dwordx4 v[8:11], v120, s[14:15] offset:1728
	global_load_dwordx4 v[0:3], v120, s[14:15] offset:2160
	v_add_co_u32_e32 v28, vcc, s16, v12
	v_addc_co_u32_e32 v29, vcc, v13, v14, vcc
	global_load_dwordx4 v[12:15], v120, s[14:15] offset:2592
	global_load_dwordx4 v[56:59], v[28:29], off
	s_mov_b32 s0, 0xaaaaaaab
	v_mul_hi_u32 v60, v150, s0
	v_mov_b32_e32 v61, s15
	v_add_co_u32_e64 v148, s[0:1], s14, v120
	v_lshrrev_b32_e32 v60, 1, v60
	v_lshl_add_u32 v60, v60, 1, v60
	v_sub_u32_e32 v60, v150, v60
	v_mul_u32_u24_e32 v60, 0xbd, v60
	v_addc_co_u32_e64 v149, s[0:1], 0, v61, s[0:1]
	v_lshlrev_b32_e32 v154, 4, v60
	s_load_dwordx4 s[8:11], s[2:3], 0x0
	v_cmp_gt_u16_e32 vcc, 6, v153
	v_add_u32_e32 v151, v120, v154
	s_waitcnt vmcnt(11)
	v_mul_f64 v[60:61], v[34:35], v[26:27]
	v_mul_f64 v[62:63], v[32:33], v[26:27]
	s_waitcnt vmcnt(10)
	v_mul_f64 v[64:65], v[38:39], v[18:19]
	v_mul_f64 v[66:67], v[36:37], v[18:19]
	v_fma_f64 v[32:33], v[32:33], v[24:25], v[60:61]
	s_waitcnt vmcnt(7)
	v_mul_f64 v[68:69], v[42:43], v[22:23]
	v_mul_f64 v[70:71], v[40:41], v[22:23]
	s_waitcnt vmcnt(6)
	v_mul_f64 v[72:73], v[46:47], v[6:7]
	v_mul_f64 v[74:75], v[44:45], v[6:7]
	v_fma_f64 v[34:35], v[34:35], v[24:25], -v[62:63]
	v_fma_f64 v[36:37], v[36:37], v[16:17], v[64:65]
	v_fma_f64 v[38:39], v[38:39], v[16:17], -v[66:67]
	v_fma_f64 v[40:41], v[40:41], v[20:21], v[68:69]
	v_fma_f64 v[42:43], v[42:43], v[20:21], -v[70:71]
	s_waitcnt vmcnt(3)
	v_mul_f64 v[76:77], v[50:51], v[10:11]
	v_mul_f64 v[78:79], v[48:49], v[10:11]
	s_waitcnt vmcnt(2)
	v_mul_f64 v[80:81], v[54:55], v[2:3]
	v_mul_f64 v[82:83], v[52:53], v[2:3]
	v_fma_f64 v[44:45], v[44:45], v[4:5], v[72:73]
	v_fma_f64 v[46:47], v[46:47], v[4:5], -v[74:75]
	s_waitcnt vmcnt(0)
	v_mul_f64 v[84:85], v[58:59], v[14:15]
	v_mul_f64 v[86:87], v[56:57], v[14:15]
	v_fma_f64 v[48:49], v[48:49], v[8:9], v[76:77]
	v_fma_f64 v[50:51], v[50:51], v[8:9], -v[78:79]
	v_fma_f64 v[52:53], v[52:53], v[0:1], v[80:81]
	v_fma_f64 v[54:55], v[54:55], v[0:1], -v[82:83]
	;; [unrolled: 2-line block ×3, first 2 shown]
	ds_write_b128 v151, v[32:35]
	ds_write_b128 v151, v[36:39] offset:432
	ds_write_b128 v151, v[40:43] offset:864
	;; [unrolled: 1-line block ×6, first 2 shown]
	s_and_saveexec_b64 s[2:3], vcc
	s_cbranch_execz .LBB0_3
; %bb.2:
	v_mad_u64_u32 v[36:37], s[0:1], s12, v152, 0
	v_mov_b32_e32 v32, 0xfffff730
	v_mad_u64_u32 v[38:39], s[0:1], s12, v32, v[28:29]
	v_mov_b32_e32 v28, v37
	v_mad_u64_u32 v[28:29], s[0:1], s13, v152, v[28:29]
	s_mul_i32 s18, s13, 0xfffff730
	s_sub_i32 s0, s18, s12
	v_mov_b32_e32 v37, v28
	v_lshlrev_b64 v[28:29], 4, v[36:37]
	v_add_u32_e32 v39, s0, v39
	v_add_co_u32_e64 v28, s[0:1], v30, v28
	v_mov_b32_e32 v36, 0x360
	v_addc_co_u32_e64 v29, s[0:1], v31, v29, s[0:1]
	v_mad_u64_u32 v[48:49], s[0:1], s12, v36, v[38:39]
	global_load_dwordx4 v[32:35], v[38:39], off
	s_mul_i32 s0, s13, 0x360
	global_load_dwordx4 v[28:31], v[28:29], off
	s_nop 0
	global_load_dwordx4 v[36:39], v[148:149], off offset:336
	global_load_dwordx4 v[40:43], v[148:149], off offset:768
	v_add_u32_e32 v49, s0, v49
	v_mov_b32_e32 v78, s17
	v_add_co_u32_e64 v60, s[0:1], s16, v48
	v_addc_co_u32_e64 v61, s[0:1], v49, v78, s[0:1]
	global_load_dwordx4 v[44:47], v[48:49], off
	v_add_co_u32_e64 v64, s[0:1], s16, v60
	global_load_dwordx4 v[48:51], v[60:61], off
	global_load_dwordx4 v[52:55], v[148:149], off offset:1200
	global_load_dwordx4 v[56:59], v[148:149], off offset:1632
	v_addc_co_u32_e64 v65, s[0:1], v61, v78, s[0:1]
	v_add_co_u32_e64 v76, s[0:1], s16, v64
	global_load_dwordx4 v[60:63], v[64:65], off
	v_addc_co_u32_e64 v77, s[0:1], v65, v78, s[0:1]
	global_load_dwordx4 v[64:67], v[76:77], off
	global_load_dwordx4 v[68:71], v[148:149], off offset:2064
	global_load_dwordx4 v[72:75], v[148:149], off offset:2496
	v_add_co_u32_e64 v84, s[0:1], s16, v76
	v_addc_co_u32_e64 v85, s[0:1], v77, v78, s[0:1]
	global_load_dwordx4 v[76:79], v[148:149], off offset:2928
	global_load_dwordx4 v[80:83], v[84:85], off
	s_waitcnt vmcnt(11)
	v_mul_f64 v[84:85], v[34:35], v[38:39]
	v_mul_f64 v[38:39], v[32:33], v[38:39]
	s_waitcnt vmcnt(10)
	v_mul_f64 v[90:91], v[30:31], v[42:43]
	v_mul_f64 v[92:93], v[28:29], v[42:43]
	v_fma_f64 v[32:33], v[32:33], v[36:37], v[84:85]
	v_fma_f64 v[34:35], v[34:35], v[36:37], -v[38:39]
	s_waitcnt vmcnt(7)
	v_mul_f64 v[86:87], v[46:47], v[54:55]
	v_mul_f64 v[54:55], v[44:45], v[54:55]
	s_waitcnt vmcnt(6)
	v_mul_f64 v[88:89], v[50:51], v[58:59]
	v_mul_f64 v[58:59], v[48:49], v[58:59]
	v_fma_f64 v[28:29], v[28:29], v[40:41], v[90:91]
	v_fma_f64 v[30:31], v[30:31], v[40:41], -v[92:93]
	;; [unrolled: 8-line block ×3, first 2 shown]
	s_waitcnt vmcnt(0)
	v_mul_f64 v[96:97], v[82:83], v[78:79]
	v_mul_f64 v[78:79], v[80:81], v[78:79]
	v_fma_f64 v[42:43], v[48:49], v[56:57], v[88:89]
	v_fma_f64 v[44:45], v[50:51], v[56:57], -v[58:59]
	v_fma_f64 v[46:47], v[60:61], v[68:69], v[94:95]
	v_fma_f64 v[48:49], v[62:63], v[68:69], -v[70:71]
	;; [unrolled: 2-line block ×4, first 2 shown]
	ds_write_b128 v151, v[32:35] offset:336
	ds_write_b128 v151, v[36:39] offset:1200
	;; [unrolled: 1-line block ×7, first 2 shown]
.LBB0_3:
	s_or_b64 exec, exec, s[2:3]
	s_waitcnt lgkmcnt(0)
	; wave barrier
	s_waitcnt lgkmcnt(0)
	ds_read_b128 v[56:59], v151
	ds_read_b128 v[72:75], v151 offset:432
	ds_read_b128 v[68:71], v151 offset:864
	;; [unrolled: 1-line block ×6, first 2 shown]
	s_load_dwordx2 s[2:3], s[4:5], 0x8
                                        ; implicit-def: $vgpr28_vgpr29
                                        ; implicit-def: $vgpr32_vgpr33
                                        ; implicit-def: $vgpr36_vgpr37
                                        ; implicit-def: $vgpr40_vgpr41
                                        ; implicit-def: $vgpr44_vgpr45
                                        ; implicit-def: $vgpr48_vgpr49
                                        ; implicit-def: $vgpr52_vgpr53
	s_and_saveexec_b64 s[0:1], vcc
	s_cbranch_execz .LBB0_5
; %bb.4:
	ds_read_b128 v[28:31], v151 offset:336
	ds_read_b128 v[32:35], v151 offset:768
	;; [unrolled: 1-line block ×7, first 2 shown]
.LBB0_5:
	s_or_b64 exec, exec, s[0:1]
	s_waitcnt lgkmcnt(0)
	v_add_f64 v[84:85], v[72:73], v[80:81]
	v_add_f64 v[86:87], v[74:75], v[82:83]
	v_add_f64 v[72:73], v[72:73], -v[80:81]
	v_add_f64 v[74:75], v[74:75], -v[82:83]
	v_add_f64 v[80:81], v[68:69], v[76:77]
	v_add_f64 v[82:83], v[70:71], v[78:79]
	v_add_f64 v[68:69], v[68:69], -v[76:77]
	v_add_f64 v[70:71], v[70:71], -v[78:79]
	;; [unrolled: 4-line block ×4, first 2 shown]
	v_add_f64 v[84:85], v[84:85], -v[76:77]
	v_add_f64 v[86:87], v[86:87], -v[78:79]
	;; [unrolled: 1-line block ×4, first 2 shown]
	v_add_f64 v[92:93], v[60:61], v[68:69]
	v_add_f64 v[94:95], v[62:63], v[70:71]
	v_add_f64 v[96:97], v[60:61], -v[68:69]
	v_add_f64 v[98:99], v[62:63], -v[70:71]
	v_add_f64 v[64:65], v[76:77], v[64:65]
	v_add_f64 v[66:67], v[78:79], v[66:67]
	v_add_f64 v[68:69], v[68:69], -v[72:73]
	v_add_f64 v[70:71], v[70:71], -v[74:75]
	s_mov_b32 s12, 0x37e14327
	s_mov_b32 s4, 0x36b3c0b5
	;; [unrolled: 1-line block ×8, first 2 shown]
	v_add_f64 v[60:61], v[72:73], -v[60:61]
	v_add_f64 v[62:63], v[74:75], -v[62:63]
	v_add_f64 v[72:73], v[92:93], v[72:73]
	v_add_f64 v[74:75], v[94:95], v[74:75]
	v_add_f64 v[56:57], v[56:57], v[64:65]
	v_add_f64 v[58:59], v[58:59], v[66:67]
	v_mul_f64 v[76:77], v[84:85], s[12:13]
	v_mul_f64 v[78:79], v[86:87], s[12:13]
	v_mul_f64 v[84:85], v[80:81], s[4:5]
	v_mul_f64 v[86:87], v[82:83], s[4:5]
	v_mul_f64 v[92:93], v[96:97], s[18:19]
	v_mul_f64 v[94:95], v[98:99], s[18:19]
	v_mul_f64 v[96:97], v[68:69], s[16:17]
	v_mul_f64 v[98:99], v[70:71], s[16:17]
	s_mov_b32 s20, 0xaaaaaaaa
	s_mov_b32 s22, 0x5476071b
	;; [unrolled: 1-line block ×10, first 2 shown]
	v_fma_f64 v[64:65], v[64:65], s[20:21], v[56:57]
	v_fma_f64 v[66:67], v[66:67], s[20:21], v[58:59]
	;; [unrolled: 1-line block ×4, first 2 shown]
	v_fma_f64 v[84:85], v[88:89], s[22:23], -v[84:85]
	v_fma_f64 v[86:87], v[90:91], s[22:23], -v[86:87]
	;; [unrolled: 1-line block ×4, first 2 shown]
	v_fma_f64 v[88:89], v[60:61], s[28:29], v[92:93]
	v_fma_f64 v[90:91], v[62:63], s[28:29], v[94:95]
	v_fma_f64 v[60:61], v[60:61], s[30:31], -v[96:97]
	v_fma_f64 v[62:63], v[62:63], s[30:31], -v[98:99]
	s_mov_b32 s24, 0x37c3f68c
	s_mov_b32 s25, 0x3fdc38aa
	v_fma_f64 v[68:69], v[68:69], s[16:17], -v[92:93]
	v_fma_f64 v[70:71], v[70:71], s[16:17], -v[94:95]
	v_add_f64 v[93:94], v[80:81], v[64:65]
	v_add_f64 v[95:96], v[82:83], v[66:67]
	;; [unrolled: 1-line block ×6, first 2 shown]
	v_fma_f64 v[62:63], v[74:75], s[24:25], v[62:63]
	v_fma_f64 v[60:61], v[72:73], s[24:25], v[60:61]
	;; [unrolled: 1-line block ×6, first 2 shown]
	v_add_co_u32_e64 v92, s[0:1], 21, v153
	v_add_f64 v[76:77], v[64:65], v[62:63]
	v_add_f64 v[78:79], v[66:67], -v[60:61]
	v_add_f64 v[88:89], v[64:65], -v[62:63]
	v_add_f64 v[90:91], v[60:61], v[66:67]
	v_add_f64 v[60:61], v[32:33], v[52:53]
	;; [unrolled: 1-line block ×3, first 2 shown]
	v_add_f64 v[32:33], v[32:33], -v[52:53]
	v_add_f64 v[34:35], v[34:35], -v[54:55]
	v_add_f64 v[52:53], v[36:37], v[48:49]
	v_add_f64 v[54:55], v[38:39], v[50:51]
	v_add_f64 v[36:37], v[36:37], -v[48:49]
	v_add_f64 v[38:39], v[38:39], -v[50:51]
	v_add_f64 v[48:49], v[40:41], v[44:45]
	v_add_f64 v[50:51], v[42:43], v[46:47]
	;; [unrolled: 4-line block ×3, first 2 shown]
	v_add_f64 v[68:69], v[93:94], v[97:98]
	v_add_f64 v[70:71], v[95:96], -v[99:100]
	v_add_f64 v[80:81], v[84:85], -v[74:75]
	v_add_f64 v[82:83], v[72:73], v[86:87]
	v_add_f64 v[84:85], v[84:85], v[74:75]
	v_add_f64 v[86:87], v[86:87], -v[72:73]
	v_add_f64 v[93:94], v[93:94], -v[97:98]
	v_add_f64 v[95:96], v[99:100], v[95:96]
	v_add_f64 v[64:65], v[52:53], -v[60:61]
	v_add_f64 v[66:67], v[54:55], -v[62:63]
	;; [unrolled: 1-line block ×6, first 2 shown]
	v_add_f64 v[72:73], v[40:41], v[36:37]
	v_add_f64 v[74:75], v[42:43], v[38:39]
	v_add_f64 v[97:98], v[40:41], -v[36:37]
	v_add_f64 v[99:100], v[42:43], -v[38:39]
	v_add_f64 v[44:45], v[48:49], v[44:45]
	v_add_f64 v[46:47], v[50:51], v[46:47]
	v_add_f64 v[36:37], v[36:37], -v[32:33]
	v_add_f64 v[38:39], v[38:39], -v[34:35]
	;; [unrolled: 1-line block ×4, first 2 shown]
	v_add_f64 v[48:49], v[72:73], v[32:33]
	v_add_f64 v[34:35], v[74:75], v[34:35]
	;; [unrolled: 1-line block ×4, first 2 shown]
	v_mul_f64 v[32:33], v[60:61], s[12:13]
	v_mul_f64 v[50:51], v[62:63], s[12:13]
	v_mul_f64 v[60:61], v[52:53], s[4:5]
	v_mul_f64 v[62:63], v[54:55], s[4:5]
	v_mul_f64 v[72:73], v[97:98], s[18:19]
	v_mul_f64 v[74:75], v[99:100], s[18:19]
	v_mul_f64 v[97:98], v[36:37], s[16:17]
	v_mul_f64 v[99:100], v[38:39], s[16:17]
	v_fma_f64 v[44:45], v[44:45], s[20:21], v[28:29]
	v_fma_f64 v[46:47], v[46:47], s[20:21], v[30:31]
	v_fma_f64 v[52:53], v[52:53], s[4:5], v[32:33]
	v_fma_f64 v[54:55], v[54:55], s[4:5], v[50:51]
	v_fma_f64 v[60:61], v[64:65], s[22:23], -v[60:61]
	v_fma_f64 v[62:63], v[66:67], s[22:23], -v[62:63]
	v_fma_f64 v[32:33], v[64:65], s[26:27], -v[32:33]
	v_fma_f64 v[50:51], v[66:67], s[26:27], -v[50:51]
	v_fma_f64 v[64:65], v[40:41], s[28:29], v[72:73]
	v_fma_f64 v[66:67], v[42:43], s[28:29], v[74:75]
	v_fma_f64 v[42:43], v[42:43], s[30:31], -v[99:100]
	v_fma_f64 v[40:41], v[40:41], s[30:31], -v[97:98]
	;; [unrolled: 1-line block ×4, first 2 shown]
	v_add_f64 v[60:61], v[60:61], v[44:45]
	v_add_f64 v[62:63], v[62:63], v[46:47]
	;; [unrolled: 1-line block ×4, first 2 shown]
	v_fma_f64 v[42:43], v[34:35], s[24:25], v[42:43]
	v_fma_f64 v[40:41], v[48:49], s[24:25], v[40:41]
	;; [unrolled: 1-line block ×4, first 2 shown]
	v_add_f64 v[32:33], v[52:53], v[44:45]
	v_add_f64 v[36:37], v[54:55], v[46:47]
	v_fma_f64 v[38:39], v[48:49], s[24:25], v[64:65]
	v_fma_f64 v[34:35], v[34:35], s[24:25], v[66:67]
	v_add_f64 v[44:45], v[72:73], v[42:43]
	v_add_f64 v[46:47], v[74:75], -v[40:41]
	v_add_f64 v[48:49], v[60:61], -v[97:98]
	v_add_f64 v[50:51], v[99:100], v[62:63]
	v_add_f64 v[60:61], v[60:61], v[97:98]
	v_add_f64 v[62:63], v[62:63], -v[99:100]
	v_add_f64 v[64:65], v[72:73], -v[42:43]
	v_add_f64 v[66:67], v[40:41], v[74:75]
	v_add_f64 v[72:73], v[32:33], -v[34:35]
	v_add_f64 v[74:75], v[38:39], v[36:37]
	v_mul_lo_u16_e32 v40, 7, v153
	v_lshl_add_u32 v159, v40, 4, v154
	v_mul_u32_u24_e32 v156, 7, v92
	s_waitcnt lgkmcnt(0)
	; wave barrier
	ds_write_b128 v159, v[56:59]
	ds_write_b128 v159, v[68:71] offset:16
	ds_write_b128 v159, v[76:79] offset:32
	;; [unrolled: 1-line block ×6, first 2 shown]
	s_and_saveexec_b64 s[0:1], vcc
	s_cbranch_execz .LBB0_7
; %bb.6:
	v_add_f64 v[36:37], v[36:37], -v[38:39]
	v_add_f64 v[34:35], v[32:33], v[34:35]
	v_lshl_add_u32 v32, v156, 4, v154
	ds_write_b128 v32, v[28:31]
	ds_write_b128 v32, v[44:47] offset:32
	ds_write_b128 v32, v[48:51] offset:48
	;; [unrolled: 1-line block ×6, first 2 shown]
.LBB0_7:
	s_or_b64 exec, exec, s[0:1]
	v_mov_b32_e32 v32, 37
	v_mul_lo_u16_sdwa v28, v153, v32 dst_sel:DWORD dst_unused:UNUSED_PAD src0_sel:BYTE_0 src1_sel:DWORD
	v_sub_u16_sdwa v29, v153, v28 dst_sel:DWORD dst_unused:UNUSED_PAD src0_sel:DWORD src1_sel:BYTE_1
	v_lshrrev_b16_e32 v29, 1, v29
	v_and_b32_e32 v29, 0x7f, v29
	v_add_u16_sdwa v28, v29, v28 dst_sel:DWORD dst_unused:UNUSED_PAD src0_sel:DWORD src1_sel:BYTE_1
	v_lshrrev_b16_e32 v110, 2, v28
	v_mul_lo_u16_e32 v28, 7, v110
	v_sub_u16_e32 v111, v153, v28
	v_mul_lo_u16_sdwa v28, v92, v32 dst_sel:DWORD dst_unused:UNUSED_PAD src0_sel:BYTE_0 src1_sel:DWORD
	v_sub_u16_sdwa v29, v92, v28 dst_sel:DWORD dst_unused:UNUSED_PAD src0_sel:DWORD src1_sel:BYTE_1
	v_lshrrev_b16_e32 v29, 1, v29
	v_and_b32_e32 v29, 0x7f, v29
	v_add_u16_sdwa v28, v29, v28 dst_sel:DWORD dst_unused:UNUSED_PAD src0_sel:DWORD src1_sel:BYTE_1
	v_lshrrev_b16_e32 v112, 2, v28
	v_mul_lo_u16_e32 v28, 7, v112
	v_add_co_u32_e64 v93, s[0:1], 42, v153
	v_sub_u16_e32 v113, v92, v28
	v_mov_b32_e32 v33, 5
	v_lshlrev_b32_sdwa v34, v33, v113 dst_sel:DWORD dst_unused:UNUSED_PAD src0_sel:DWORD src1_sel:BYTE_0
	v_mul_lo_u16_sdwa v32, v93, v32 dst_sel:DWORD dst_unused:UNUSED_PAD src0_sel:BYTE_0 src1_sel:DWORD
	s_waitcnt lgkmcnt(0)
	; wave barrier
	s_waitcnt lgkmcnt(0)
	global_load_dwordx4 v[28:31], v34, s[2:3] offset:16
	global_load_dwordx4 v[36:39], v34, s[2:3]
	v_sub_u16_sdwa v34, v93, v32 dst_sel:DWORD dst_unused:UNUSED_PAD src0_sel:DWORD src1_sel:BYTE_1
	v_lshrrev_b16_e32 v34, 1, v34
	v_and_b32_e32 v34, 0x7f, v34
	v_add_u16_sdwa v32, v34, v32 dst_sel:DWORD dst_unused:UNUSED_PAD src0_sel:DWORD src1_sel:BYTE_1
	v_lshrrev_b16_e32 v137, 2, v32
	v_mul_lo_u16_e32 v32, 7, v137
	v_sub_u16_e32 v138, v93, v32
	v_lshlrev_b32_sdwa v52, v33, v138 dst_sel:DWORD dst_unused:UNUSED_PAD src0_sel:DWORD src1_sel:BYTE_0
	global_load_dwordx4 v[32:35], v52, s[2:3] offset:16
	global_load_dwordx4 v[40:43], v52, s[2:3]
	v_lshlrev_b16_e32 v52, 1, v111
	v_and_b32_e32 v52, 0xfe, v52
	v_lshlrev_b32_e32 v68, 4, v52
	global_load_dwordx4 v[56:59], v68, s[2:3]
	global_load_dwordx4 v[52:55], v68, s[2:3] offset:16
	ds_read_b128 v[68:71], v151
	ds_read_b128 v[76:79], v151 offset:336
	ds_read_b128 v[80:83], v151 offset:2016
	;; [unrolled: 1-line block ×8, first 2 shown]
	v_mul_u32_u24_e32 v112, 21, v112
	v_mad_legacy_u16 v110, v110, 21, v111
	v_add_u32_sdwa v111, v112, v113 dst_sel:DWORD dst_unused:UNUSED_PAD src0_sel:DWORD src1_sel:BYTE_0
	v_and_b32_e32 v110, 0xff, v110
	v_lshl_add_u32 v157, v111, 4, v154
	v_lshl_add_u32 v158, v110, 4, v154
	s_mov_b32 s0, 0xe8584caa
	s_mov_b32 s1, 0x3febb67a
	;; [unrolled: 1-line block ×4, first 2 shown]
	s_movk_i32 s12, 0x87
	s_waitcnt lgkmcnt(0)
	; wave barrier
	s_waitcnt lgkmcnt(0)
	v_lshlrev_b32_e32 v147, 5, v153
	v_lshlrev_b32_e32 v92, 5, v92
	v_lshl_add_u32 v155, v153, 4, v154
	s_waitcnt vmcnt(5)
	v_mul_f64 v[114:115], v[86:87], v[30:31]
	s_waitcnt vmcnt(4)
	v_mul_f64 v[110:111], v[100:101], v[38:39]
	v_mul_f64 v[112:113], v[98:99], v[38:39]
	;; [unrolled: 1-line block ×3, first 2 shown]
	v_fma_f64 v[84:85], v[84:85], v[28:29], -v[114:115]
	s_waitcnt vmcnt(3)
	v_mul_f64 v[123:124], v[108:109], v[34:35]
	s_waitcnt vmcnt(2)
	v_mul_f64 v[118:119], v[104:105], v[42:43]
	v_mul_f64 v[121:122], v[102:103], v[42:43]
	;; [unrolled: 1-line block ×3, first 2 shown]
	s_waitcnt vmcnt(1)
	v_mul_f64 v[127:128], v[90:91], v[58:59]
	v_mul_f64 v[129:130], v[88:89], v[58:59]
	s_waitcnt vmcnt(0)
	v_mul_f64 v[131:132], v[82:83], v[54:55]
	v_mul_f64 v[133:134], v[80:81], v[54:55]
	v_fma_f64 v[98:99], v[98:99], v[36:37], -v[110:111]
	v_fma_f64 v[100:101], v[100:101], v[36:37], v[112:113]
	v_fma_f64 v[102:103], v[102:103], v[40:41], -v[118:119]
	v_fma_f64 v[86:87], v[86:87], v[28:29], v[116:117]
	;; [unrolled: 2-line block ×4, first 2 shown]
	v_fma_f64 v[104:105], v[104:105], v[40:41], v[121:122]
	v_fma_f64 v[106:107], v[106:107], v[32:33], -v[123:124]
	v_fma_f64 v[108:109], v[108:109], v[32:33], v[125:126]
	v_add_f64 v[80:81], v[76:77], v[98:99]
	v_add_f64 v[82:83], v[98:99], v[84:85]
	v_add_f64 v[118:119], v[98:99], -v[84:85]
	v_add_f64 v[98:99], v[94:95], v[102:103]
	v_add_f64 v[129:130], v[88:89], v[110:111]
	v_add_f64 v[131:132], v[90:91], -v[112:113]
	;; [unrolled: 3-line block ×3, first 2 shown]
	v_add_f64 v[116:117], v[78:79], v[100:101]
	v_add_f64 v[100:101], v[100:101], v[86:87]
	;; [unrolled: 1-line block ×3, first 2 shown]
	v_add_f64 v[123:124], v[104:105], -v[108:109]
	v_add_f64 v[125:126], v[96:97], v[104:105]
	v_add_f64 v[104:105], v[104:105], v[108:109]
	v_add_f64 v[127:128], v[102:103], -v[106:107]
	v_add_f64 v[102:103], v[68:69], v[88:89]
	v_add_f64 v[135:136], v[88:89], -v[110:111]
	v_fma_f64 v[88:89], v[82:83], -0.5, v[76:77]
	v_add_f64 v[76:77], v[98:99], v[106:107]
	v_fma_f64 v[98:99], v[129:130], -0.5, v[68:69]
	v_fma_f64 v[90:91], v[90:91], -0.5, v[70:71]
	v_add_f64 v[82:83], v[116:117], v[86:87]
	v_fma_f64 v[116:117], v[100:101], -0.5, v[78:79]
	v_fma_f64 v[106:107], v[121:122], -0.5, v[94:95]
	v_add_f64 v[78:79], v[125:126], v[108:109]
	v_fma_f64 v[108:109], v[104:105], -0.5, v[96:97]
	v_add_f64 v[68:69], v[102:103], v[110:111]
	v_add_f64 v[70:71], v[133:134], v[112:113]
	v_fma_f64 v[94:95], v[131:132], s[0:1], v[98:99]
	v_fma_f64 v[96:97], v[135:136], s[4:5], v[90:91]
	;; [unrolled: 1-line block ×4, first 2 shown]
	v_add_f64 v[80:81], v[80:81], v[84:85]
	v_fma_f64 v[84:85], v[114:115], s[0:1], v[88:89]
	v_fma_f64 v[86:87], v[118:119], s[4:5], v[116:117]
	;; [unrolled: 1-line block ×8, first 2 shown]
	ds_write_b128 v158, v[68:71]
	ds_write_b128 v158, v[94:97] offset:112
	ds_write_b128 v158, v[98:101] offset:224
	ds_write_b128 v157, v[80:83]
	ds_write_b128 v157, v[84:87] offset:112
	ds_write_b128 v157, v[88:91] offset:224
	v_mul_lo_u16_sdwa v80, v93, s12 dst_sel:DWORD dst_unused:UNUSED_PAD src0_sel:BYTE_0 src1_sel:DWORD
	v_sub_u16_sdwa v81, v93, v80 dst_sel:DWORD dst_unused:UNUSED_PAD src0_sel:DWORD src1_sel:BYTE_1
	v_lshrrev_b16_e32 v81, 1, v81
	v_mul_u32_u24_e32 v68, 21, v137
	v_and_b32_e32 v81, 0x7f, v81
	v_add_u32_sdwa v68, v68, v138 dst_sel:DWORD dst_unused:UNUSED_PAD src0_sel:DWORD src1_sel:BYTE_0
	v_add_u16_sdwa v80, v81, v80 dst_sel:DWORD dst_unused:UNUSED_PAD src0_sel:DWORD src1_sel:BYTE_1
	v_lshl_add_u32 v160, v68, 4, v154
	v_lshrrev_b16_e32 v80, 4, v80
	ds_write_b128 v160, v[76:79]
	ds_write_b128 v160, v[102:105] offset:112
	ds_write_b128 v160, v[106:109] offset:224
	s_waitcnt lgkmcnt(0)
	; wave barrier
	s_waitcnt lgkmcnt(0)
	global_load_dwordx4 v[68:71], v147, s[2:3] offset:240
	global_load_dwordx4 v[76:79], v147, s[2:3] offset:224
	v_and_b32_e32 v80, 15, v80
	v_mul_lo_u16_e32 v80, 21, v80
	v_sub_u16_e32 v80, v93, v80
	v_and_b32_e32 v88, 0xff, v80
	v_lshlrev_b32_e32 v89, 5, v88
	global_load_dwordx4 v[84:87], v89, s[2:3] offset:224
	global_load_dwordx4 v[80:83], v89, s[2:3] offset:240
	v_lshl_add_u32 v161, v88, 4, v154
	ds_read_b128 v[88:91], v151
	ds_read_b128 v[94:97], v151 offset:336
	ds_read_b128 v[98:101], v151 offset:2016
	;; [unrolled: 1-line block ×8, first 2 shown]
	s_waitcnt lgkmcnt(0)
	; wave barrier
	s_waitcnt vmcnt(3) lgkmcnt(0)
	v_mul_f64 v[131:132], v[100:101], v[70:71]
	s_waitcnt vmcnt(2)
	v_mul_f64 v[118:119], v[108:109], v[78:79]
	v_mul_f64 v[129:130], v[106:107], v[78:79]
	v_mul_f64 v[133:134], v[98:99], v[70:71]
	v_mul_f64 v[135:136], v[116:117], v[78:79]
	v_mul_f64 v[137:138], v[114:115], v[78:79]
	v_mul_f64 v[139:140], v[104:105], v[70:71]
	v_mul_f64 v[141:142], v[102:103], v[70:71]
	s_waitcnt vmcnt(1)
	v_mul_f64 v[143:144], v[123:124], v[86:87]
	v_mul_f64 v[145:146], v[121:122], v[86:87]
	s_waitcnt vmcnt(0)
	v_mul_f64 v[162:163], v[127:128], v[82:83]
	v_mul_f64 v[164:165], v[125:126], v[82:83]
	v_fma_f64 v[106:107], v[106:107], v[76:77], -v[118:119]
	v_fma_f64 v[108:109], v[108:109], v[76:77], v[129:130]
	v_fma_f64 v[98:99], v[98:99], v[68:69], -v[131:132]
	v_fma_f64 v[100:101], v[100:101], v[68:69], v[133:134]
	;; [unrolled: 2-line block ×6, first 2 shown]
	v_add_f64 v[127:128], v[88:89], v[106:107]
	v_add_f64 v[129:130], v[106:107], v[98:99]
	v_add_f64 v[131:132], v[108:109], -v[100:101]
	v_add_f64 v[133:134], v[90:91], v[108:109]
	v_add_f64 v[108:109], v[108:109], v[100:101]
	;; [unrolled: 1-line block ×3, first 2 shown]
	v_add_f64 v[139:140], v[116:117], -v[104:105]
	v_add_f64 v[141:142], v[96:97], v[116:117]
	v_add_f64 v[116:117], v[116:117], v[104:105]
	v_add_f64 v[135:136], v[106:107], -v[98:99]
	v_add_f64 v[106:107], v[94:95], v[114:115]
	v_add_f64 v[143:144], v[114:115], -v[102:103]
	v_add_f64 v[114:115], v[110:111], v[118:119]
	v_add_f64 v[145:146], v[118:119], v[123:124]
	v_add_f64 v[162:163], v[121:122], -v[125:126]
	v_add_f64 v[164:165], v[112:113], v[121:122]
	v_add_f64 v[121:122], v[121:122], v[125:126]
	;; [unrolled: 1-line block ×3, first 2 shown]
	v_fma_f64 v[127:128], v[129:130], -0.5, v[88:89]
	v_fma_f64 v[108:109], v[108:109], -0.5, v[90:91]
	;; [unrolled: 1-line block ×4, first 2 shown]
	v_add_f64 v[118:119], v[118:119], -v[123:124]
	v_add_f64 v[100:101], v[133:134], v[100:101]
	v_add_f64 v[94:95], v[114:115], v[123:124]
	v_fma_f64 v[123:124], v[145:146], -0.5, v[110:111]
	v_fma_f64 v[133:134], v[121:122], -0.5, v[112:113]
	v_add_f64 v[88:89], v[106:107], v[102:103]
	v_add_f64 v[90:91], v[141:142], v[104:105]
	v_fma_f64 v[102:103], v[131:132], s[0:1], v[127:128]
	v_fma_f64 v[104:105], v[135:136], s[4:5], v[108:109]
	;; [unrolled: 1-line block ×8, first 2 shown]
	v_add_f64 v[96:97], v[164:165], v[125:126]
	v_fma_f64 v[121:122], v[162:163], s[0:1], v[123:124]
	v_fma_f64 v[125:126], v[162:163], s[4:5], v[123:124]
	;; [unrolled: 1-line block ×4, first 2 shown]
	ds_write_b128 v151, v[98:101]
	ds_write_b128 v151, v[88:91] offset:1008
	ds_write_b128 v151, v[102:105] offset:336
	;; [unrolled: 1-line block ×8, first 2 shown]
	s_waitcnt lgkmcnt(0)
	; wave barrier
	s_waitcnt lgkmcnt(0)
	global_load_dwordx4 v[96:99], v147, s[2:3] offset:896
	global_load_dwordx4 v[88:91], v147, s[2:3] offset:912
	;; [unrolled: 1-line block ×4, first 2 shown]
	v_lshlrev_b32_e32 v112, 5, v93
	global_load_dwordx4 v[108:111], v112, s[2:3] offset:896
	global_load_dwordx4 v[92:95], v112, s[2:3] offset:912
	ds_read_b128 v[112:115], v151 offset:1008
	ds_read_b128 v[116:119], v151 offset:2016
	;; [unrolled: 1-line block ×6, first 2 shown]
	ds_read_b128 v[137:140], v151
	ds_read_b128 v[141:144], v151 offset:336
	ds_read_b128 v[162:165], v151 offset:672
	s_add_u32 s2, s14, 0xbd0
	s_addc_u32 s3, s15, 0
	s_waitcnt vmcnt(5) lgkmcnt(8)
	v_mul_f64 v[145:146], v[114:115], v[98:99]
	v_mul_f64 v[166:167], v[112:113], v[98:99]
	s_waitcnt vmcnt(4) lgkmcnt(7)
	v_mul_f64 v[168:169], v[118:119], v[90:91]
	v_mul_f64 v[170:171], v[116:117], v[90:91]
	;; [unrolled: 3-line block ×3, first 2 shown]
	s_waitcnt vmcnt(2)
	v_mul_f64 v[176:177], v[123:124], v[102:103]
	v_mul_f64 v[178:179], v[121:122], v[102:103]
	s_waitcnt vmcnt(1) lgkmcnt(4)
	v_mul_f64 v[180:181], v[131:132], v[110:111]
	v_mul_f64 v[182:183], v[129:130], v[110:111]
	s_waitcnt vmcnt(0) lgkmcnt(3)
	v_mul_f64 v[184:185], v[135:136], v[94:95]
	v_mul_f64 v[186:187], v[133:134], v[94:95]
	v_fma_f64 v[112:113], v[112:113], v[96:97], -v[145:146]
	v_fma_f64 v[114:115], v[114:115], v[96:97], v[166:167]
	v_fma_f64 v[116:117], v[116:117], v[88:89], -v[168:169]
	v_fma_f64 v[118:119], v[118:119], v[88:89], v[170:171]
	;; [unrolled: 2-line block ×6, first 2 shown]
	v_add_f64 v[133:134], v[112:113], v[116:117]
	v_add_f64 v[135:136], v[114:115], v[118:119]
	s_waitcnt lgkmcnt(2)
	v_add_f64 v[168:169], v[137:138], v[112:113]
	v_add_f64 v[170:171], v[139:140], v[114:115]
	;; [unrolled: 1-line block ×4, first 2 shown]
	s_waitcnt lgkmcnt(1)
	v_add_f64 v[176:177], v[141:142], v[125:126]
	v_add_f64 v[178:179], v[143:144], v[127:128]
	;; [unrolled: 1-line block ×4, first 2 shown]
	v_add_f64 v[114:115], v[114:115], -v[118:119]
	v_add_f64 v[112:113], v[112:113], -v[116:117]
	v_fma_f64 v[137:138], v[133:134], -0.5, v[137:138]
	v_fma_f64 v[139:140], v[135:136], -0.5, v[139:140]
	v_add_f64 v[180:181], v[127:128], -v[166:167]
	s_waitcnt lgkmcnt(0)
	v_add_f64 v[182:183], v[164:165], v[123:124]
	v_add_f64 v[184:185], v[162:163], v[121:122]
	v_add_f64 v[186:187], v[125:126], -v[145:146]
	v_add_f64 v[190:191], v[123:124], -v[131:132]
	;; [unrolled: 1-line block ×3, first 2 shown]
	v_add_f64 v[123:124], v[170:171], v[118:119]
	v_add_f64 v[121:122], v[168:169], v[116:117]
	v_fma_f64 v[116:117], v[172:173], -0.5, v[141:142]
	v_fma_f64 v[118:119], v[174:175], -0.5, v[143:144]
	v_add_f64 v[127:128], v[178:179], v[166:167]
	v_add_f64 v[125:126], v[176:177], v[145:146]
	v_fma_f64 v[145:146], v[192:193], -0.5, v[162:163]
	v_fma_f64 v[166:167], v[188:189], -0.5, v[164:165]
	v_fma_f64 v[133:134], v[114:115], s[0:1], v[137:138]
	v_fma_f64 v[135:136], v[112:113], s[4:5], v[139:140]
	v_fma_f64 v[137:138], v[114:115], s[4:5], v[137:138]
	v_fma_f64 v[139:140], v[112:113], s[0:1], v[139:140]
	v_fma_f64 v[141:142], v[180:181], s[0:1], v[116:117]
	v_fma_f64 v[143:144], v[186:187], s[4:5], v[118:119]
	v_fma_f64 v[162:163], v[180:181], s[4:5], v[116:117]
	v_fma_f64 v[164:165], v[186:187], s[0:1], v[118:119]
	v_add_f64 v[131:132], v[182:183], v[131:132]
	v_add_f64 v[129:130], v[184:185], v[129:130]
	v_fma_f64 v[112:113], v[190:191], s[0:1], v[145:146]
	v_fma_f64 v[114:115], v[194:195], s[4:5], v[166:167]
	;; [unrolled: 1-line block ×4, first 2 shown]
	ds_write_b128 v151, v[121:124]
	ds_write_b128 v155, v[125:128] offset:336
	ds_write_b128 v155, v[133:136] offset:1008
	;; [unrolled: 1-line block ×8, first 2 shown]
	s_waitcnt lgkmcnt(0)
	; wave barrier
	s_waitcnt lgkmcnt(0)
	global_load_dwordx4 v[121:124], v[148:149], off offset:3024
	global_load_dwordx4 v[125:128], v120, s[2:3] offset:432
	global_load_dwordx4 v[129:132], v120, s[2:3] offset:864
	;; [unrolled: 1-line block ×6, first 2 shown]
	ds_read_b128 v[166:169], v151
	ds_read_b128 v[170:173], v151 offset:432
	ds_read_b128 v[174:177], v151 offset:864
	;; [unrolled: 1-line block ×6, first 2 shown]
	s_waitcnt vmcnt(5) lgkmcnt(5)
	v_mul_f64 v[194:195], v[172:173], v[127:128]
	v_mul_f64 v[127:128], v[170:171], v[127:128]
	s_waitcnt vmcnt(4) lgkmcnt(4)
	v_mul_f64 v[196:197], v[176:177], v[131:132]
	v_mul_f64 v[131:132], v[174:175], v[131:132]
	;; [unrolled: 1-line block ×4, first 2 shown]
	s_waitcnt vmcnt(3) lgkmcnt(3)
	v_mul_f64 v[198:199], v[180:181], v[135:136]
	v_mul_f64 v[135:136], v[178:179], v[135:136]
	s_waitcnt vmcnt(2) lgkmcnt(2)
	v_mul_f64 v[200:201], v[184:185], v[139:140]
	v_mul_f64 v[139:140], v[182:183], v[139:140]
	;; [unrolled: 3-line block ×4, first 2 shown]
	v_fma_f64 v[143:144], v[166:167], v[121:122], -v[145:146]
	v_fma_f64 v[145:146], v[168:169], v[121:122], v[123:124]
	v_fma_f64 v[121:122], v[170:171], v[125:126], -v[194:195]
	v_fma_f64 v[123:124], v[172:173], v[125:126], v[127:128]
	;; [unrolled: 2-line block ×7, first 2 shown]
	ds_write_b128 v151, v[143:146]
	ds_write_b128 v151, v[121:124] offset:432
	ds_write_b128 v151, v[125:128] offset:864
	;; [unrolled: 1-line block ×6, first 2 shown]
	s_and_saveexec_b64 s[4:5], vcc
	s_cbranch_execz .LBB0_9
; %bb.8:
	v_mov_b32_e32 v121, s3
	v_add_co_u32_e64 v144, s[0:1], s2, v120
	v_addc_co_u32_e64 v145, s[0:1], 0, v121, s[0:1]
	global_load_dwordx4 v[120:123], v[144:145], off offset:336
	global_load_dwordx4 v[124:127], v[144:145], off offset:768
	;; [unrolled: 1-line block ×6, first 2 shown]
	s_nop 0
	global_load_dwordx4 v[144:147], v[144:145], off offset:2928
	ds_read_b128 v[162:165], v155 offset:336
	ds_read_b128 v[166:169], v155 offset:768
	;; [unrolled: 1-line block ×7, first 2 shown]
	s_waitcnt vmcnt(6) lgkmcnt(6)
	v_mul_f64 v[190:191], v[164:165], v[122:123]
	v_mul_f64 v[122:123], v[162:163], v[122:123]
	s_waitcnt vmcnt(5) lgkmcnt(5)
	v_mul_f64 v[192:193], v[168:169], v[126:127]
	v_mul_f64 v[126:127], v[166:167], v[126:127]
	;; [unrolled: 3-line block ×7, first 2 shown]
	v_fma_f64 v[162:163], v[162:163], v[120:121], -v[190:191]
	v_fma_f64 v[164:165], v[164:165], v[120:121], v[122:123]
	v_fma_f64 v[120:121], v[166:167], v[124:125], -v[192:193]
	v_fma_f64 v[122:123], v[168:169], v[124:125], v[126:127]
	;; [unrolled: 2-line block ×7, first 2 shown]
	ds_write_b128 v155, v[162:165] offset:336
	ds_write_b128 v155, v[120:123] offset:768
	;; [unrolled: 1-line block ×7, first 2 shown]
.LBB0_9:
	s_or_b64 exec, exec, s[4:5]
	s_waitcnt lgkmcnt(0)
	; wave barrier
	s_waitcnt lgkmcnt(0)
	ds_read_b128 v[120:123], v151
	ds_read_b128 v[136:139], v151 offset:432
	ds_read_b128 v[132:135], v151 offset:864
	;; [unrolled: 1-line block ×6, first 2 shown]
	s_and_saveexec_b64 s[0:1], vcc
	s_cbranch_execz .LBB0_11
; %bb.10:
	ds_read_b128 v[112:115], v155 offset:336
	ds_read_b128 v[116:119], v155 offset:768
	;; [unrolled: 1-line block ×7, first 2 shown]
.LBB0_11:
	s_or_b64 exec, exec, s[0:1]
	s_waitcnt lgkmcnt(0)
	v_add_f64 v[162:163], v[136:137], v[144:145]
	v_add_f64 v[164:165], v[138:139], v[146:147]
	v_add_f64 v[136:137], v[136:137], -v[144:145]
	v_add_f64 v[138:139], v[138:139], -v[146:147]
	v_add_f64 v[144:145], v[132:133], v[140:141]
	v_add_f64 v[146:147], v[134:135], v[142:143]
	v_add_f64 v[132:133], v[132:133], -v[140:141]
	v_add_f64 v[134:135], v[134:135], -v[142:143]
	;; [unrolled: 4-line block ×4, first 2 shown]
	v_add_f64 v[162:163], v[162:163], -v[140:141]
	v_add_f64 v[164:165], v[164:165], -v[142:143]
	;; [unrolled: 1-line block ×4, first 2 shown]
	v_add_f64 v[170:171], v[124:125], v[132:133]
	v_add_f64 v[172:173], v[126:127], v[134:135]
	v_add_f64 v[174:175], v[124:125], -v[132:133]
	v_add_f64 v[176:177], v[126:127], -v[134:135]
	v_add_f64 v[128:129], v[140:141], v[128:129]
	v_add_f64 v[130:131], v[142:143], v[130:131]
	v_add_f64 v[132:133], v[132:133], -v[136:137]
	v_add_f64 v[134:135], v[134:135], -v[138:139]
	s_mov_b32 s2, 0x37e14327
	s_mov_b32 s4, 0x36b3c0b5
	;; [unrolled: 1-line block ×7, first 2 shown]
	v_add_f64 v[140:141], v[136:137], -v[124:125]
	v_add_f64 v[142:143], v[138:139], -v[126:127]
	v_add_f64 v[136:137], v[170:171], v[136:137]
	v_add_f64 v[138:139], v[172:173], v[138:139]
	;; [unrolled: 1-line block ×4, first 2 shown]
	v_mul_f64 v[120:121], v[162:163], s[2:3]
	v_mul_f64 v[122:123], v[164:165], s[2:3]
	;; [unrolled: 1-line block ×6, first 2 shown]
	s_mov_b32 s1, 0xbfebfeb5
	v_mul_f64 v[174:175], v[132:133], s[0:1]
	v_mul_f64 v[176:177], v[134:135], s[0:1]
	s_mov_b32 s16, 0xaaaaaaaa
	s_mov_b32 s12, 0x5476071b
	s_mov_b32 s24, 0xb247c609
	s_mov_b32 s17, 0xbff2aaaa
	s_mov_b32 s13, 0x3fe77f67
	s_mov_b32 s19, 0xbfe77f67
	s_mov_b32 s18, s12
	s_mov_b32 s25, 0xbfd5d0dc
	v_fma_f64 v[128:129], v[128:129], s[16:17], v[124:125]
	v_fma_f64 v[130:131], v[130:131], s[16:17], v[126:127]
	;; [unrolled: 1-line block ×4, first 2 shown]
	v_fma_f64 v[162:163], v[166:167], s[12:13], -v[162:163]
	v_fma_f64 v[164:165], v[168:169], s[12:13], -v[164:165]
	;; [unrolled: 1-line block ×4, first 2 shown]
	v_fma_f64 v[166:167], v[140:141], s[24:25], v[170:171]
	v_fma_f64 v[168:169], v[142:143], s[24:25], v[172:173]
	s_mov_b32 s23, 0x3fd5d0dc
	s_mov_b32 s22, s24
	v_fma_f64 v[140:141], v[140:141], s[22:23], -v[174:175]
	v_fma_f64 v[142:143], v[142:143], s[22:23], -v[176:177]
	;; [unrolled: 1-line block ×4, first 2 shown]
	s_mov_b32 s20, 0x37c3f68c
	s_mov_b32 s21, 0xbfdc38aa
	v_add_f64 v[170:171], v[144:145], v[128:129]
	v_add_f64 v[172:173], v[146:147], v[130:131]
	;; [unrolled: 1-line block ×3, first 2 shown]
	v_fma_f64 v[164:165], v[138:139], s[20:21], v[168:169]
	v_fma_f64 v[166:167], v[136:137], s[20:21], v[166:167]
	v_add_f64 v[144:145], v[162:163], v[128:129]
	v_add_f64 v[162:163], v[120:121], v[128:129]
	;; [unrolled: 1-line block ×3, first 2 shown]
	v_fma_f64 v[168:169], v[138:139], s[20:21], v[142:143]
	v_fma_f64 v[174:175], v[136:137], s[20:21], v[140:141]
	;; [unrolled: 1-line block ×4, first 2 shown]
	v_add_f64 v[128:129], v[170:171], v[164:165]
	v_add_f64 v[130:131], v[172:173], -v[166:167]
	v_add_u32_e32 v121, 0x150, v151
	v_add_u32_e32 v120, 0x2a0, v151
	v_add_f64 v[132:133], v[162:163], v[168:169]
	v_add_f64 v[134:135], v[122:123], -v[174:175]
	v_add_f64 v[136:137], v[144:145], -v[140:141]
	v_add_f64 v[138:139], v[142:143], v[146:147]
	v_add_f64 v[140:141], v[144:145], v[140:141]
	v_add_f64 v[142:143], v[146:147], -v[142:143]
	v_add_f64 v[144:145], v[162:163], -v[168:169]
	v_add_f64 v[146:147], v[174:175], v[122:123]
	v_add_f64 v[162:163], v[170:171], -v[164:165]
	v_add_f64 v[164:165], v[166:167], v[172:173]
	s_waitcnt lgkmcnt(0)
	; wave barrier
	ds_write_b128 v159, v[124:127]
	ds_write_b128 v159, v[128:131] offset:16
	ds_write_b128 v159, v[132:135] offset:32
	;; [unrolled: 1-line block ×6, first 2 shown]
	s_and_saveexec_b64 s[26:27], vcc
	s_cbranch_execz .LBB0_13
; %bb.12:
	v_add_f64 v[122:123], v[118:119], v[74:75]
	v_add_f64 v[124:125], v[46:47], v[66:67]
	v_add_f64 v[128:129], v[60:61], -v[48:49]
	v_add_f64 v[130:131], v[44:45], -v[64:65]
	v_add_f64 v[132:133], v[50:51], v[62:63]
	v_add_f64 v[64:65], v[44:45], v[64:65]
	v_add_f64 v[126:127], v[116:117], -v[72:73]
	v_add_f64 v[72:73], v[116:117], v[72:73]
	v_add_f64 v[48:49], v[48:49], v[60:61]
	;; [unrolled: 1-line block ×3, first 2 shown]
	v_add_f64 v[60:61], v[118:119], -v[74:75]
	v_add_f64 v[50:51], v[62:63], -v[50:51]
	;; [unrolled: 1-line block ×6, first 2 shown]
	v_add_f64 v[116:117], v[128:129], v[130:131]
	v_add_f64 v[44:45], v[132:133], v[44:45]
	;; [unrolled: 1-line block ×3, first 2 shown]
	v_add_f64 v[130:131], v[130:131], -v[126:127]
	v_add_f64 v[118:119], v[132:133], -v[124:125]
	v_mul_f64 v[136:137], v[46:47], s[14:15]
	v_mul_f64 v[74:75], v[74:75], s[2:3]
	v_add_f64 v[132:133], v[72:73], -v[48:49]
	v_add_f64 v[134:135], v[48:49], -v[64:65]
	v_add_f64 v[46:47], v[114:115], v[44:45]
	v_add_f64 v[138:139], v[50:51], -v[62:63]
	v_add_f64 v[48:49], v[48:49], v[128:129]
	;; [unrolled: 2-line block ×3, first 2 shown]
	v_add_f64 v[62:63], v[62:63], -v[60:61]
	v_mul_f64 v[50:51], v[130:131], s[0:1]
	v_add_f64 v[116:117], v[116:117], v[126:127]
	v_fma_f64 v[126:127], v[66:67], s[24:25], v[136:137]
	v_fma_f64 v[128:129], v[118:119], s[4:5], v[74:75]
	;; [unrolled: 1-line block ×3, first 2 shown]
	v_add_f64 v[122:123], v[124:125], -v[122:123]
	v_mul_f64 v[124:125], v[132:133], s[2:3]
	v_add_f64 v[44:45], v[112:113], v[48:49]
	v_mul_f64 v[118:119], v[118:119], s[4:5]
	v_mul_f64 v[132:133], v[138:139], s[14:15]
	v_fma_f64 v[66:67], v[66:67], s[22:23], -v[50:51]
	v_add_f64 v[64:65], v[64:65], -v[72:73]
	v_mul_f64 v[72:73], v[62:63], s[0:1]
	v_fma_f64 v[112:113], v[116:117], s[20:21], v[126:127]
	v_add_f64 v[126:127], v[128:129], v[140:141]
	v_mul_f64 v[128:129], v[134:135], s[4:5]
	v_fma_f64 v[134:135], v[134:135], s[4:5], v[124:125]
	v_fma_f64 v[74:75], v[122:123], s[18:19], -v[74:75]
	v_fma_f64 v[48:49], v[48:49], s[16:17], v[44:45]
	v_fma_f64 v[138:139], v[114:115], s[24:25], v[132:133]
	v_add_f64 v[60:61], v[142:143], v[60:61]
	v_fma_f64 v[118:119], v[122:123], s[12:13], -v[118:119]
	v_fma_f64 v[122:123], v[130:131], s[0:1], -v[136:137]
	v_fma_f64 v[130:131], v[116:117], s[20:21], v[66:67]
	v_fma_f64 v[66:67], v[64:65], s[18:19], -v[124:125]
	v_fma_f64 v[72:73], v[114:115], s[22:23], -v[72:73]
	;; [unrolled: 1-line block ×4, first 2 shown]
	v_fma_f64 v[124:125], v[60:61], s[20:21], v[138:139]
	v_add_f64 v[136:137], v[74:75], v[140:141]
	v_fma_f64 v[114:115], v[116:117], s[20:21], v[122:123]
	v_add_f64 v[122:123], v[134:135], v[48:49]
	v_add_f64 v[74:75], v[118:119], v[140:141]
	;; [unrolled: 1-line block ×3, first 2 shown]
	v_fma_f64 v[132:133], v[60:61], s[20:21], v[72:73]
	v_add_f64 v[48:49], v[64:65], v[48:49]
	v_fma_f64 v[60:61], v[60:61], s[20:21], v[62:63]
	v_add_f64 v[118:119], v[126:127], -v[112:113]
	v_add_f64 v[50:51], v[112:113], v[126:127]
	v_add_f64 v[116:117], v[122:123], v[124:125]
	v_add_f64 v[66:67], v[74:75], -v[114:115]
	v_add_f64 v[74:75], v[114:115], v[74:75]
	v_add_f64 v[114:115], v[136:137], -v[130:131]
	;; [unrolled: 2-line block ×3, first 2 shown]
	v_add_f64 v[64:65], v[48:49], v[60:61]
	v_add_f64 v[62:63], v[130:131], v[136:137]
	v_add_f64 v[60:61], v[128:129], -v[132:133]
	v_add_f64 v[48:49], v[122:123], -v[124:125]
	v_lshl_add_u32 v122, v156, 4, v154
	ds_write_b128 v122, v[44:47]
	ds_write_b128 v122, v[116:119] offset:16
	ds_write_b128 v122, v[112:115] offset:32
	;; [unrolled: 1-line block ×6, first 2 shown]
.LBB0_13:
	s_or_b64 exec, exec, s[26:27]
	s_waitcnt lgkmcnt(0)
	; wave barrier
	s_waitcnt lgkmcnt(0)
	ds_read_b128 v[44:47], v151 offset:1008
	ds_read_b128 v[48:51], v151
	ds_read_b128 v[60:63], v151 offset:336
	ds_read_b128 v[64:67], v151 offset:2016
	;; [unrolled: 1-line block ×4, first 2 shown]
	s_waitcnt lgkmcnt(5)
	v_mul_f64 v[130:131], v[58:59], v[46:47]
	v_mul_f64 v[58:59], v[58:59], v[44:45]
	ds_read_b128 v[116:119], v151 offset:1344
	ds_read_b128 v[122:125], v151 offset:1680
	s_waitcnt lgkmcnt(4)
	v_mul_f64 v[132:133], v[54:55], v[66:67]
	v_mul_f64 v[54:55], v[54:55], v[64:65]
	ds_read_b128 v[126:129], v151 offset:2688
	s_waitcnt lgkmcnt(2)
	v_mul_f64 v[134:135], v[38:39], v[118:119]
	v_mul_f64 v[38:39], v[38:39], v[116:117]
	v_fma_f64 v[44:45], v[56:57], v[44:45], v[130:131]
	v_fma_f64 v[46:47], v[56:57], v[46:47], -v[58:59]
	v_mul_f64 v[58:59], v[30:31], v[74:75]
	v_mul_f64 v[30:31], v[30:31], v[72:73]
	v_fma_f64 v[56:57], v[52:53], v[64:65], v[132:133]
	v_fma_f64 v[52:53], v[52:53], v[66:67], -v[54:55]
	v_fma_f64 v[54:55], v[36:37], v[116:117], v[134:135]
	v_fma_f64 v[64:65], v[36:37], v[118:119], -v[38:39]
	s_waitcnt lgkmcnt(1)
	v_mul_f64 v[38:39], v[42:43], v[122:123]
	v_mul_f64 v[36:37], v[42:43], v[124:125]
	v_fma_f64 v[58:59], v[28:29], v[72:73], v[58:59]
	v_fma_f64 v[72:73], v[28:29], v[74:75], -v[30:31]
	s_waitcnt lgkmcnt(0)
	v_mul_f64 v[28:29], v[34:35], v[126:127]
	v_add_f64 v[30:31], v[48:49], v[44:45]
	v_add_f64 v[42:43], v[44:45], v[56:57]
	v_mul_f64 v[66:67], v[34:35], v[128:129]
	v_fma_f64 v[116:117], v[40:41], v[124:125], -v[38:39]
	v_add_f64 v[38:39], v[46:47], v[52:53]
	v_fma_f64 v[74:75], v[40:41], v[122:123], v[36:37]
	v_add_f64 v[36:37], v[46:47], -v[52:53]
	v_fma_f64 v[118:119], v[32:33], v[128:129], -v[28:29]
	v_add_f64 v[28:29], v[30:31], v[56:57]
	v_add_f64 v[30:31], v[54:55], v[58:59]
	v_fma_f64 v[34:35], v[42:43], -0.5, v[48:49]
	v_fma_f64 v[66:67], v[32:33], v[126:127], v[66:67]
	v_add_f64 v[40:41], v[50:51], v[46:47]
	v_fma_f64 v[38:39], v[38:39], -0.5, v[50:51]
	v_add_f64 v[42:43], v[44:45], -v[56:57]
	v_add_f64 v[44:45], v[60:61], v[54:55]
	v_add_f64 v[48:49], v[64:65], -v[72:73]
	v_fma_f64 v[46:47], v[30:31], -0.5, v[60:61]
	v_add_f64 v[50:51], v[64:65], v[72:73]
	s_mov_b32 s0, 0xe8584caa
	s_mov_b32 s1, 0xbfebb67a
	;; [unrolled: 1-line block ×4, first 2 shown]
	v_fma_f64 v[32:33], v[36:37], s[0:1], v[34:35]
	v_fma_f64 v[36:37], v[36:37], s[2:3], v[34:35]
	v_add_f64 v[30:31], v[40:41], v[52:53]
	v_fma_f64 v[34:35], v[42:43], s[2:3], v[38:39]
	v_fma_f64 v[38:39], v[42:43], s[0:1], v[38:39]
	v_add_f64 v[40:41], v[44:45], v[58:59]
	v_add_f64 v[42:43], v[74:75], v[66:67]
	v_fma_f64 v[44:45], v[48:49], s[0:1], v[46:47]
	v_fma_f64 v[48:49], v[48:49], s[2:3], v[46:47]
	v_add_f64 v[46:47], v[116:117], v[118:119]
	v_add_f64 v[52:53], v[62:63], v[64:65]
	v_fma_f64 v[50:51], v[50:51], -0.5, v[62:63]
	v_add_f64 v[54:55], v[54:55], -v[58:59]
	v_add_f64 v[56:57], v[112:113], v[74:75]
	v_add_f64 v[62:63], v[114:115], v[116:117]
	v_fma_f64 v[58:59], v[42:43], -0.5, v[112:113]
	v_add_f64 v[60:61], v[116:117], -v[118:119]
	v_fma_f64 v[64:65], v[46:47], -0.5, v[114:115]
	v_add_f64 v[74:75], v[74:75], -v[66:67]
	v_add_f64 v[42:43], v[52:53], v[72:73]
	v_fma_f64 v[46:47], v[54:55], s[2:3], v[50:51]
	v_fma_f64 v[50:51], v[54:55], s[0:1], v[50:51]
	v_add_f64 v[52:53], v[56:57], v[66:67]
	v_add_f64 v[54:55], v[62:63], v[118:119]
	v_fma_f64 v[56:57], v[60:61], s[0:1], v[58:59]
	v_fma_f64 v[60:61], v[60:61], s[2:3], v[58:59]
	;; [unrolled: 1-line block ×4, first 2 shown]
	s_waitcnt lgkmcnt(0)
	; wave barrier
	ds_write_b128 v158, v[28:31]
	ds_write_b128 v158, v[32:35] offset:112
	ds_write_b128 v158, v[36:39] offset:224
	ds_write_b128 v157, v[40:43]
	ds_write_b128 v157, v[44:47] offset:112
	ds_write_b128 v157, v[48:51] offset:224
	;; [unrolled: 3-line block ×3, first 2 shown]
	s_waitcnt lgkmcnt(0)
	; wave barrier
	s_waitcnt lgkmcnt(0)
	ds_read_b128 v[28:31], v151 offset:1008
	ds_read_b128 v[32:35], v151
	ds_read_b128 v[36:39], v151 offset:336
	ds_read_b128 v[40:43], v151 offset:672
	;; [unrolled: 1-line block ×4, first 2 shown]
	s_waitcnt lgkmcnt(5)
	v_mul_f64 v[64:65], v[78:79], v[30:31]
	v_mul_f64 v[66:67], v[78:79], v[28:29]
	ds_read_b128 v[52:55], v151 offset:1344
	ds_read_b128 v[56:59], v151 offset:1680
	s_waitcnt lgkmcnt(3)
	v_mul_f64 v[72:73], v[70:71], v[46:47]
	v_mul_f64 v[74:75], v[70:71], v[44:45]
	ds_read_b128 v[60:63], v151 offset:2688
	s_waitcnt lgkmcnt(0)
	; wave barrier
	s_waitcnt lgkmcnt(0)
	v_fma_f64 v[28:29], v[76:77], v[28:29], v[64:65]
	v_mul_f64 v[64:65], v[78:79], v[54:55]
	v_fma_f64 v[30:31], v[76:77], v[30:31], -v[66:67]
	v_mul_f64 v[66:67], v[78:79], v[52:53]
	v_mul_f64 v[78:79], v[70:71], v[50:51]
	;; [unrolled: 1-line block ×3, first 2 shown]
	v_fma_f64 v[44:45], v[68:69], v[44:45], v[72:73]
	v_fma_f64 v[46:47], v[68:69], v[46:47], -v[74:75]
	v_mul_f64 v[72:73], v[86:87], v[58:59]
	v_fma_f64 v[64:65], v[76:77], v[52:53], v[64:65]
	v_mul_f64 v[52:53], v[86:87], v[56:57]
	v_fma_f64 v[54:55], v[76:77], v[54:55], -v[66:67]
	v_fma_f64 v[66:67], v[68:69], v[48:49], v[78:79]
	v_fma_f64 v[50:51], v[68:69], v[50:51], -v[70:71]
	v_mul_f64 v[68:69], v[82:83], v[62:63]
	v_add_f64 v[48:49], v[28:29], v[44:45]
	v_mul_f64 v[70:71], v[82:83], v[60:61]
	v_fma_f64 v[56:57], v[84:85], v[56:57], v[72:73]
	v_fma_f64 v[58:59], v[84:85], v[58:59], -v[52:53]
	v_add_f64 v[52:53], v[30:31], v[46:47]
	v_add_f64 v[72:73], v[32:33], v[28:29]
	v_add_f64 v[74:75], v[30:31], -v[46:47]
	v_fma_f64 v[60:61], v[80:81], v[60:61], v[68:69]
	v_add_f64 v[68:69], v[64:65], v[66:67]
	v_fma_f64 v[48:49], v[48:49], -0.5, v[32:33]
	v_fma_f64 v[62:63], v[80:81], v[62:63], -v[70:71]
	v_add_f64 v[30:31], v[34:35], v[30:31]
	v_fma_f64 v[52:53], v[52:53], -0.5, v[34:35]
	v_add_f64 v[70:71], v[28:29], -v[44:45]
	v_add_f64 v[76:77], v[54:55], -v[50:51]
	v_add_f64 v[28:29], v[72:73], v[44:45]
	v_fma_f64 v[68:69], v[68:69], -0.5, v[36:37]
	v_fma_f64 v[32:33], v[74:75], s[0:1], v[48:49]
	v_add_f64 v[72:73], v[36:37], v[64:65]
	v_fma_f64 v[44:45], v[74:75], s[2:3], v[48:49]
	v_add_f64 v[74:75], v[54:55], v[50:51]
	v_add_f64 v[30:31], v[30:31], v[46:47]
	v_fma_f64 v[34:35], v[70:71], s[2:3], v[52:53]
	v_fma_f64 v[46:47], v[70:71], s[0:1], v[52:53]
	v_add_f64 v[70:71], v[56:57], v[60:61]
	v_fma_f64 v[48:49], v[76:77], s[0:1], v[68:69]
	v_fma_f64 v[52:53], v[76:77], s[2:3], v[68:69]
	v_add_f64 v[68:69], v[58:59], v[62:63]
	v_add_f64 v[54:55], v[38:39], v[54:55]
	;; [unrolled: 1-line block ×3, first 2 shown]
	v_fma_f64 v[72:73], v[74:75], -0.5, v[38:39]
	v_add_f64 v[64:65], v[64:65], -v[66:67]
	v_add_f64 v[66:67], v[40:41], v[56:57]
	v_add_f64 v[74:75], v[58:59], -v[62:63]
	v_add_f64 v[58:59], v[42:43], v[58:59]
	v_fma_f64 v[70:71], v[70:71], -0.5, v[40:41]
	v_fma_f64 v[68:69], v[68:69], -0.5, v[42:43]
	v_add_f64 v[76:77], v[56:57], -v[60:61]
	v_add_f64 v[38:39], v[54:55], v[50:51]
	v_fma_f64 v[50:51], v[64:65], s[2:3], v[72:73]
	v_fma_f64 v[54:55], v[64:65], s[0:1], v[72:73]
	v_add_f64 v[40:41], v[66:67], v[60:61]
	v_add_f64 v[42:43], v[58:59], v[62:63]
	v_fma_f64 v[56:57], v[74:75], s[0:1], v[70:71]
	v_fma_f64 v[60:61], v[74:75], s[2:3], v[70:71]
	;; [unrolled: 1-line block ×4, first 2 shown]
	ds_write_b128 v151, v[28:31]
	ds_write_b128 v151, v[32:35] offset:336
	ds_write_b128 v151, v[44:47] offset:672
	;; [unrolled: 1-line block ×8, first 2 shown]
	s_waitcnt lgkmcnt(0)
	; wave barrier
	s_waitcnt lgkmcnt(0)
	ds_read_b128 v[28:31], v151 offset:1008
	ds_read_b128 v[32:35], v151
	ds_read_b128 v[36:39], v151 offset:336
	ds_read_b128 v[40:43], v151 offset:672
	;; [unrolled: 1-line block ×4, first 2 shown]
	s_waitcnt lgkmcnt(5)
	v_mul_f64 v[64:65], v[98:99], v[30:31]
	v_mul_f64 v[66:67], v[98:99], v[28:29]
	ds_read_b128 v[52:55], v151 offset:1344
	ds_read_b128 v[56:59], v151 offset:1680
	s_waitcnt lgkmcnt(3)
	v_mul_f64 v[68:69], v[90:91], v[46:47]
	v_mul_f64 v[70:71], v[90:91], v[44:45]
	s_waitcnt lgkmcnt(2)
	v_mul_f64 v[72:73], v[102:103], v[50:51]
	ds_read_b128 v[60:63], v151 offset:2688
	v_fma_f64 v[28:29], v[96:97], v[28:29], v[64:65]
	s_waitcnt lgkmcnt(2)
	v_mul_f64 v[64:65], v[106:107], v[54:55]
	v_fma_f64 v[30:31], v[96:97], v[30:31], -v[66:67]
	v_mul_f64 v[66:67], v[106:107], v[52:53]
	v_fma_f64 v[44:45], v[88:89], v[44:45], v[68:69]
	v_mul_f64 v[68:69], v[102:103], v[48:49]
	v_fma_f64 v[46:47], v[88:89], v[46:47], -v[70:71]
	s_waitcnt lgkmcnt(1)
	v_mul_f64 v[70:71], v[110:111], v[58:59]
	v_fma_f64 v[64:65], v[104:105], v[52:53], v[64:65]
	v_mul_f64 v[52:53], v[110:111], v[56:57]
	v_fma_f64 v[54:55], v[104:105], v[54:55], -v[66:67]
	v_fma_f64 v[66:67], v[100:101], v[48:49], v[72:73]
	v_fma_f64 v[50:51], v[100:101], v[50:51], -v[68:69]
	s_waitcnt lgkmcnt(0)
	v_mul_f64 v[68:69], v[94:95], v[62:63]
	v_add_f64 v[48:49], v[28:29], v[44:45]
	v_fma_f64 v[56:57], v[108:109], v[56:57], v[70:71]
	v_mul_f64 v[70:71], v[94:95], v[60:61]
	v_fma_f64 v[58:59], v[108:109], v[58:59], -v[52:53]
	v_add_f64 v[52:53], v[30:31], v[46:47]
	v_add_f64 v[72:73], v[32:33], v[28:29]
	v_add_f64 v[74:75], v[30:31], -v[46:47]
	v_fma_f64 v[60:61], v[92:93], v[60:61], v[68:69]
	v_add_f64 v[68:69], v[64:65], v[66:67]
	v_fma_f64 v[48:49], v[48:49], -0.5, v[32:33]
	v_fma_f64 v[62:63], v[92:93], v[62:63], -v[70:71]
	v_add_f64 v[30:31], v[34:35], v[30:31]
	v_fma_f64 v[52:53], v[52:53], -0.5, v[34:35]
	v_add_f64 v[70:71], v[28:29], -v[44:45]
	v_add_f64 v[76:77], v[54:55], -v[50:51]
	v_add_f64 v[28:29], v[72:73], v[44:45]
	v_fma_f64 v[68:69], v[68:69], -0.5, v[36:37]
	v_fma_f64 v[32:33], v[74:75], s[0:1], v[48:49]
	v_add_f64 v[72:73], v[36:37], v[64:65]
	v_fma_f64 v[44:45], v[74:75], s[2:3], v[48:49]
	v_add_f64 v[74:75], v[54:55], v[50:51]
	v_add_f64 v[30:31], v[30:31], v[46:47]
	v_fma_f64 v[34:35], v[70:71], s[2:3], v[52:53]
	v_fma_f64 v[46:47], v[70:71], s[0:1], v[52:53]
	v_add_f64 v[70:71], v[56:57], v[60:61]
	v_fma_f64 v[48:49], v[76:77], s[0:1], v[68:69]
	v_fma_f64 v[52:53], v[76:77], s[2:3], v[68:69]
	v_add_f64 v[68:69], v[58:59], v[62:63]
	v_add_f64 v[54:55], v[38:39], v[54:55]
	;; [unrolled: 1-line block ×3, first 2 shown]
	v_fma_f64 v[72:73], v[74:75], -0.5, v[38:39]
	v_add_f64 v[64:65], v[64:65], -v[66:67]
	v_add_f64 v[66:67], v[40:41], v[56:57]
	v_add_f64 v[74:75], v[58:59], -v[62:63]
	v_add_f64 v[58:59], v[42:43], v[58:59]
	v_fma_f64 v[70:71], v[70:71], -0.5, v[40:41]
	v_fma_f64 v[68:69], v[68:69], -0.5, v[42:43]
	v_add_f64 v[76:77], v[56:57], -v[60:61]
	v_add_f64 v[38:39], v[54:55], v[50:51]
	v_fma_f64 v[50:51], v[64:65], s[2:3], v[72:73]
	v_fma_f64 v[54:55], v[64:65], s[0:1], v[72:73]
	v_add_f64 v[40:41], v[66:67], v[60:61]
	v_add_f64 v[42:43], v[58:59], v[62:63]
	v_fma_f64 v[56:57], v[74:75], s[0:1], v[70:71]
	v_fma_f64 v[60:61], v[74:75], s[2:3], v[70:71]
	;; [unrolled: 1-line block ×4, first 2 shown]
	ds_write_b128 v151, v[28:31]
	ds_write_b128 v155, v[32:35] offset:1008
	ds_write_b128 v155, v[44:47] offset:2016
	;; [unrolled: 1-line block ×8, first 2 shown]
	s_waitcnt lgkmcnt(0)
	; wave barrier
	s_waitcnt lgkmcnt(0)
	ds_read_b128 v[28:31], v151
	ds_read_b128 v[32:35], v151 offset:432
	v_mad_u64_u32 v[36:37], s[0:1], s10, v150, 0
	s_mov_b32 s2, 0x6b015ac0
	s_waitcnt lgkmcnt(1)
	v_mul_f64 v[38:39], v[26:27], v[30:31]
	v_mul_f64 v[26:27], v[26:27], v[28:29]
	s_mov_b32 s3, 0x3f75ac05
	v_mad_u64_u32 v[40:41], s[0:1], s11, v150, v[37:38]
	v_mad_u64_u32 v[41:42], s[0:1], s8, v153, 0
	v_fma_f64 v[28:29], v[24:25], v[28:29], v[38:39]
	v_fma_f64 v[26:27], v[24:25], v[30:31], -v[26:27]
	v_mov_b32_e32 v24, v42
	v_mad_u64_u32 v[30:31], s[0:1], s9, v153, v[24:25]
	v_mov_b32_e32 v37, v40
	v_mov_b32_e32 v42, v30
	v_mul_f64 v[24:25], v[28:29], s[2:3]
	v_lshlrev_b64 v[28:29], 4, v[36:37]
	s_waitcnt lgkmcnt(0)
	v_mul_f64 v[30:31], v[18:19], v[34:35]
	v_mul_f64 v[36:37], v[18:19], v[32:33]
	v_mov_b32_e32 v19, s7
	v_add_co_u32_e64 v18, s[0:1], s6, v28
	v_mul_f64 v[26:27], v[26:27], s[2:3]
	v_addc_co_u32_e64 v19, s[0:1], v19, v29, s[0:1]
	v_lshlrev_b64 v[28:29], 4, v[41:42]
	v_fma_f64 v[32:33], v[16:17], v[32:33], v[30:31]
	v_fma_f64 v[16:17], v[16:17], v[34:35], -v[36:37]
	v_add_co_u32_e64 v36, s[0:1], v18, v28
	v_addc_co_u32_e64 v37, s[0:1], v19, v29, s[0:1]
	ds_read_b128 v[28:31], v151 offset:864
	global_store_dwordx4 v[36:37], v[24:27], off
	s_mul_i32 s0, s9, 27
	v_mul_f64 v[24:25], v[32:33], s[2:3]
	ds_read_b128 v[32:35], v151 offset:1296
	v_mul_f64 v[26:27], v[16:17], s[2:3]
	s_waitcnt lgkmcnt(1)
	v_mul_f64 v[16:17], v[22:23], v[30:31]
	v_mul_f64 v[22:23], v[22:23], v[28:29]
	s_mul_hi_u32 s1, s8, 27
	s_add_i32 s1, s1, s0
	s_mul_i32 s0, s8, 27
	s_lshl_b64 s[4:5], s[0:1], 4
	v_mov_b32_e32 v38, s5
	v_fma_f64 v[16:17], v[20:21], v[28:29], v[16:17]
	v_fma_f64 v[22:23], v[20:21], v[30:31], -v[22:23]
	s_waitcnt lgkmcnt(0)
	v_mul_f64 v[28:29], v[6:7], v[34:35]
	v_mul_f64 v[6:7], v[6:7], v[32:33]
	v_add_co_u32_e64 v30, s[0:1], s4, v36
	v_addc_co_u32_e64 v31, s[0:1], v37, v38, s[0:1]
	global_store_dwordx4 v[30:31], v[24:27], off
	ds_read_b128 v[24:27], v151 offset:1728
	v_mul_f64 v[20:21], v[16:17], s[2:3]
	v_mul_f64 v[22:23], v[22:23], s[2:3]
	v_fma_f64 v[16:17], v[4:5], v[32:33], v[28:29]
	v_fma_f64 v[28:29], v[4:5], v[34:35], -v[6:7]
	ds_read_b128 v[4:7], v151 offset:2160
	s_waitcnt lgkmcnt(1)
	v_mul_f64 v[32:33], v[10:11], v[26:27]
	v_mul_f64 v[10:11], v[10:11], v[24:25]
	v_add_co_u32_e64 v34, s[0:1], s4, v30
	v_addc_co_u32_e64 v35, s[0:1], v31, v38, s[0:1]
	global_store_dwordx4 v[34:35], v[20:23], off
	v_fma_f64 v[10:11], v[8:9], v[26:27], -v[10:11]
	v_mul_f64 v[22:23], v[28:29], s[2:3]
	ds_read_b128 v[28:31], v151 offset:2592
	v_mul_f64 v[20:21], v[16:17], s[2:3]
	v_fma_f64 v[16:17], v[8:9], v[24:25], v[32:33]
	s_waitcnt lgkmcnt(1)
	v_mul_f64 v[24:25], v[2:3], v[6:7]
	v_mul_f64 v[2:3], v[2:3], v[4:5]
	s_waitcnt lgkmcnt(0)
	v_mul_f64 v[26:27], v[14:15], v[30:31]
	v_mul_f64 v[14:15], v[14:15], v[28:29]
	;; [unrolled: 1-line block ×3, first 2 shown]
	v_add_co_u32_e64 v32, s[0:1], s4, v34
	v_mul_f64 v[8:9], v[16:17], s[2:3]
	v_fma_f64 v[4:5], v[0:1], v[4:5], v[24:25]
	v_fma_f64 v[2:3], v[0:1], v[6:7], -v[2:3]
	v_fma_f64 v[6:7], v[12:13], v[28:29], v[26:27]
	v_fma_f64 v[12:13], v[12:13], v[30:31], -v[14:15]
	v_addc_co_u32_e64 v33, s[0:1], v35, v38, s[0:1]
	v_add_co_u32_e64 v14, s[0:1], s4, v32
	v_mul_f64 v[0:1], v[4:5], s[2:3]
	v_mul_f64 v[2:3], v[2:3], s[2:3]
	;; [unrolled: 1-line block ×4, first 2 shown]
	v_addc_co_u32_e64 v15, s[0:1], v33, v38, s[0:1]
	global_store_dwordx4 v[32:33], v[20:23], off
	global_store_dwordx4 v[14:15], v[8:11], off
	s_nop 0
	v_add_co_u32_e64 v8, s[0:1], s4, v14
	v_addc_co_u32_e64 v9, s[0:1], v15, v38, s[0:1]
	global_store_dwordx4 v[8:9], v[0:3], off
	s_nop 0
	v_add_co_u32_e64 v0, s[0:1], s4, v8
	v_addc_co_u32_e64 v1, s[0:1], v9, v38, s[0:1]
	global_store_dwordx4 v[0:1], v[4:7], off
	s_and_b64 exec, exec, vcc
	s_cbranch_execz .LBB0_15
; %bb.14:
	global_load_dwordx4 v[2:5], v[148:149], off offset:336
	global_load_dwordx4 v[6:9], v[148:149], off offset:768
	;; [unrolled: 1-line block ×6, first 2 shown]
	v_mov_b32_e32 v40, 0xfffff730
	v_mad_u64_u32 v[56:57], s[0:1], s8, v152, 0
	v_mad_u64_u32 v[58:59], s[0:1], s8, v40, v[0:1]
	s_mul_i32 s6, s9, 0xfffff730
	s_sub_i32 s0, s6, s8
	v_mov_b32_e32 v0, v57
	v_mov_b32_e32 v48, 0x360
	v_add_u32_e32 v59, s0, v59
	v_mad_u64_u32 v[0:1], s[0:1], s9, v152, v[0:1]
	v_mad_u64_u32 v[60:61], s[0:1], s8, v48, v[58:59]
	ds_read_b128 v[28:31], v155 offset:336
	s_mul_i32 s7, s9, 0x360
	v_mov_b32_e32 v57, v0
	ds_read_b128 v[32:35], v151 offset:768
	ds_read_b128 v[36:39], v151 offset:1200
	v_mov_b32_e32 v74, s5
	v_lshlrev_b64 v[0:1], 4, v[56:57]
	v_add_u32_e32 v61, s7, v61
	v_add_co_u32_e32 v56, vcc, s4, v60
	v_addc_co_u32_e32 v57, vcc, v61, v74, vcc
	ds_read_b128 v[40:43], v151 offset:1632
	ds_read_b128 v[44:47], v151 offset:2064
	v_add_co_u32_e32 v62, vcc, v18, v0
	v_addc_co_u32_e32 v63, vcc, v19, v1, vcc
	ds_read_b128 v[48:51], v151 offset:2496
	ds_read_b128 v[52:55], v151 offset:2928
	v_add_co_u32_e32 v64, vcc, s4, v56
	v_addc_co_u32_e32 v65, vcc, v57, v74, vcc
	s_waitcnt vmcnt(5) lgkmcnt(6)
	v_mul_f64 v[0:1], v[30:31], v[4:5]
	v_mul_f64 v[4:5], v[28:29], v[4:5]
	s_waitcnt vmcnt(4) lgkmcnt(5)
	v_mul_f64 v[18:19], v[34:35], v[8:9]
	v_mul_f64 v[8:9], v[32:33], v[8:9]
	;; [unrolled: 3-line block ×6, first 2 shown]
	v_fma_f64 v[0:1], v[28:29], v[2:3], v[0:1]
	v_fma_f64 v[2:3], v[2:3], v[30:31], -v[4:5]
	v_fma_f64 v[4:5], v[32:33], v[6:7], v[18:19]
	v_fma_f64 v[6:7], v[6:7], v[34:35], -v[8:9]
	;; [unrolled: 2-line block ×6, first 2 shown]
	v_mul_f64 v[0:1], v[0:1], s[2:3]
	v_mul_f64 v[2:3], v[2:3], s[2:3]
	;; [unrolled: 1-line block ×12, first 2 shown]
	v_add_co_u32_e32 v24, vcc, s4, v64
	v_addc_co_u32_e32 v25, vcc, v65, v74, vcc
	global_store_dwordx4 v[58:59], v[0:3], off
	global_store_dwordx4 v[62:63], v[4:7], off
	;; [unrolled: 1-line block ×6, first 2 shown]
	global_load_dwordx4 v[0:3], v[148:149], off offset:2928
	s_waitcnt vmcnt(0) lgkmcnt(0)
	v_mul_f64 v[4:5], v[54:55], v[2:3]
	v_mul_f64 v[2:3], v[52:53], v[2:3]
	v_fma_f64 v[4:5], v[52:53], v[0:1], v[4:5]
	v_fma_f64 v[2:3], v[0:1], v[54:55], -v[2:3]
	v_mul_f64 v[0:1], v[4:5], s[2:3]
	v_mul_f64 v[2:3], v[2:3], s[2:3]
	v_add_co_u32_e32 v4, vcc, s4, v24
	v_addc_co_u32_e32 v5, vcc, v25, v74, vcc
	global_store_dwordx4 v[4:5], v[0:3], off
.LBB0_15:
	s_endpgm
	.section	.rodata,"a",@progbits
	.p2align	6, 0x0
	.amdhsa_kernel bluestein_single_back_len189_dim1_dp_op_CI_CI
		.amdhsa_group_segment_fixed_size 9072
		.amdhsa_private_segment_fixed_size 0
		.amdhsa_kernarg_size 104
		.amdhsa_user_sgpr_count 6
		.amdhsa_user_sgpr_private_segment_buffer 1
		.amdhsa_user_sgpr_dispatch_ptr 0
		.amdhsa_user_sgpr_queue_ptr 0
		.amdhsa_user_sgpr_kernarg_segment_ptr 1
		.amdhsa_user_sgpr_dispatch_id 0
		.amdhsa_user_sgpr_flat_scratch_init 0
		.amdhsa_user_sgpr_private_segment_size 0
		.amdhsa_uses_dynamic_stack 0
		.amdhsa_system_sgpr_private_segment_wavefront_offset 0
		.amdhsa_system_sgpr_workgroup_id_x 1
		.amdhsa_system_sgpr_workgroup_id_y 0
		.amdhsa_system_sgpr_workgroup_id_z 0
		.amdhsa_system_sgpr_workgroup_info 0
		.amdhsa_system_vgpr_workitem_id 0
		.amdhsa_next_free_vgpr 210
		.amdhsa_next_free_sgpr 32
		.amdhsa_reserve_vcc 1
		.amdhsa_reserve_flat_scratch 0
		.amdhsa_float_round_mode_32 0
		.amdhsa_float_round_mode_16_64 0
		.amdhsa_float_denorm_mode_32 3
		.amdhsa_float_denorm_mode_16_64 3
		.amdhsa_dx10_clamp 1
		.amdhsa_ieee_mode 1
		.amdhsa_fp16_overflow 0
		.amdhsa_exception_fp_ieee_invalid_op 0
		.amdhsa_exception_fp_denorm_src 0
		.amdhsa_exception_fp_ieee_div_zero 0
		.amdhsa_exception_fp_ieee_overflow 0
		.amdhsa_exception_fp_ieee_underflow 0
		.amdhsa_exception_fp_ieee_inexact 0
		.amdhsa_exception_int_div_zero 0
	.end_amdhsa_kernel
	.text
.Lfunc_end0:
	.size	bluestein_single_back_len189_dim1_dp_op_CI_CI, .Lfunc_end0-bluestein_single_back_len189_dim1_dp_op_CI_CI
                                        ; -- End function
	.section	.AMDGPU.csdata,"",@progbits
; Kernel info:
; codeLenInByte = 11888
; NumSgprs: 36
; NumVgprs: 210
; ScratchSize: 0
; MemoryBound: 0
; FloatMode: 240
; IeeeMode: 1
; LDSByteSize: 9072 bytes/workgroup (compile time only)
; SGPRBlocks: 4
; VGPRBlocks: 52
; NumSGPRsForWavesPerEU: 36
; NumVGPRsForWavesPerEU: 210
; Occupancy: 1
; WaveLimiterHint : 1
; COMPUTE_PGM_RSRC2:SCRATCH_EN: 0
; COMPUTE_PGM_RSRC2:USER_SGPR: 6
; COMPUTE_PGM_RSRC2:TRAP_HANDLER: 0
; COMPUTE_PGM_RSRC2:TGID_X_EN: 1
; COMPUTE_PGM_RSRC2:TGID_Y_EN: 0
; COMPUTE_PGM_RSRC2:TGID_Z_EN: 0
; COMPUTE_PGM_RSRC2:TIDIG_COMP_CNT: 0
	.type	__hip_cuid_1a30c191267db7f8,@object ; @__hip_cuid_1a30c191267db7f8
	.section	.bss,"aw",@nobits
	.globl	__hip_cuid_1a30c191267db7f8
__hip_cuid_1a30c191267db7f8:
	.byte	0                               ; 0x0
	.size	__hip_cuid_1a30c191267db7f8, 1

	.ident	"AMD clang version 19.0.0git (https://github.com/RadeonOpenCompute/llvm-project roc-6.4.0 25133 c7fe45cf4b819c5991fe208aaa96edf142730f1d)"
	.section	".note.GNU-stack","",@progbits
	.addrsig
	.addrsig_sym __hip_cuid_1a30c191267db7f8
	.amdgpu_metadata
---
amdhsa.kernels:
  - .args:
      - .actual_access:  read_only
        .address_space:  global
        .offset:         0
        .size:           8
        .value_kind:     global_buffer
      - .actual_access:  read_only
        .address_space:  global
        .offset:         8
        .size:           8
        .value_kind:     global_buffer
      - .actual_access:  read_only
        .address_space:  global
        .offset:         16
        .size:           8
        .value_kind:     global_buffer
      - .actual_access:  read_only
        .address_space:  global
        .offset:         24
        .size:           8
        .value_kind:     global_buffer
      - .actual_access:  read_only
        .address_space:  global
        .offset:         32
        .size:           8
        .value_kind:     global_buffer
      - .offset:         40
        .size:           8
        .value_kind:     by_value
      - .address_space:  global
        .offset:         48
        .size:           8
        .value_kind:     global_buffer
      - .address_space:  global
        .offset:         56
        .size:           8
        .value_kind:     global_buffer
      - .address_space:  global
        .offset:         64
        .size:           8
        .value_kind:     global_buffer
      - .address_space:  global
        .offset:         72
        .size:           8
        .value_kind:     global_buffer
      - .offset:         80
        .size:           4
        .value_kind:     by_value
      - .address_space:  global
        .offset:         88
        .size:           8
        .value_kind:     global_buffer
      - .address_space:  global
        .offset:         96
        .size:           8
        .value_kind:     global_buffer
    .group_segment_fixed_size: 9072
    .kernarg_segment_align: 8
    .kernarg_segment_size: 104
    .language:       OpenCL C
    .language_version:
      - 2
      - 0
    .max_flat_workgroup_size: 63
    .name:           bluestein_single_back_len189_dim1_dp_op_CI_CI
    .private_segment_fixed_size: 0
    .sgpr_count:     36
    .sgpr_spill_count: 0
    .symbol:         bluestein_single_back_len189_dim1_dp_op_CI_CI.kd
    .uniform_work_group_size: 1
    .uses_dynamic_stack: false
    .vgpr_count:     210
    .vgpr_spill_count: 0
    .wavefront_size: 64
amdhsa.target:   amdgcn-amd-amdhsa--gfx906
amdhsa.version:
  - 1
  - 2
...

	.end_amdgpu_metadata
